;; amdgpu-corpus repo=ROCm/rocFFT kind=compiled arch=gfx906 opt=O3
	.text
	.amdgcn_target "amdgcn-amd-amdhsa--gfx906"
	.amdhsa_code_object_version 6
	.protected	bluestein_single_back_len72_dim1_sp_op_CI_CI ; -- Begin function bluestein_single_back_len72_dim1_sp_op_CI_CI
	.globl	bluestein_single_back_len72_dim1_sp_op_CI_CI
	.p2align	8
	.type	bluestein_single_back_len72_dim1_sp_op_CI_CI,@function
bluestein_single_back_len72_dim1_sp_op_CI_CI: ; @bluestein_single_back_len72_dim1_sp_op_CI_CI
; %bb.0:
	v_mul_u32_u24_e32 v1, 0x1c72, v0
	s_load_dwordx4 s[8:11], s[4:5], 0x28
	v_lshrrev_b32_e32 v1, 16, v1
	v_mad_u64_u32 v[54:55], s[0:1], s6, 7, v[1:2]
	v_mov_b32_e32 v55, 0
	s_waitcnt lgkmcnt(0)
	v_cmp_gt_u64_e32 vcc, s[8:9], v[54:55]
	s_and_saveexec_b64 s[0:1], vcc
	s_cbranch_execz .LBB0_18
; %bb.1:
	s_load_dwordx4 s[0:3], s[4:5], 0x18
	s_load_dwordx4 s[12:15], s[4:5], 0x0
	v_mul_lo_u16_e32 v1, 9, v1
	v_sub_u16_e32 v62, v0, v1
	v_lshlrev_b32_e32 v65, 3, v62
	s_waitcnt lgkmcnt(0)
	s_load_dwordx4 s[16:19], s[0:1], 0x0
                                        ; implicit-def: $vgpr20
	s_waitcnt lgkmcnt(0)
	v_mad_u64_u32 v[0:1], s[0:1], s18, v54, 0
	v_mad_u64_u32 v[2:3], s[0:1], s16, v62, 0
	;; [unrolled: 1-line block ×4, first 2 shown]
	v_mov_b32_e32 v1, v4
	v_lshlrev_b64 v[0:1], 3, v[0:1]
	v_mov_b32_e32 v6, s11
	v_mov_b32_e32 v3, v5
	v_add_co_u32_e32 v4, vcc, s10, v0
	v_addc_co_u32_e32 v5, vcc, v6, v1, vcc
	v_lshlrev_b64 v[0:1], 3, v[2:3]
	s_mul_i32 s0, s17, 0x48
	v_add_co_u32_e32 v0, vcc, v4, v0
	s_mul_hi_u32 s1, s16, 0x48
	v_addc_co_u32_e32 v1, vcc, v5, v1, vcc
	s_add_i32 s0, s1, s0
	s_mul_i32 s1, s16, 0x48
	v_mov_b32_e32 v3, s0
	v_add_co_u32_e32 v2, vcc, s1, v0
	v_addc_co_u32_e32 v3, vcc, v1, v3, vcc
	v_mov_b32_e32 v5, s0
	v_add_co_u32_e32 v4, vcc, s1, v2
	v_addc_co_u32_e32 v5, vcc, v3, v5, vcc
	;; [unrolled: 3-line block ×3, first 2 shown]
	global_load_dwordx2 v[8:9], v[0:1], off
	global_load_dwordx2 v[10:11], v[2:3], off
	;; [unrolled: 1-line block ×4, first 2 shown]
	global_load_dwordx2 v[57:58], v65, s[12:13]
	global_load_dwordx2 v[55:56], v65, s[12:13] offset:72
	global_load_dwordx2 v[50:51], v65, s[12:13] offset:144
	;; [unrolled: 1-line block ×3, first 2 shown]
	v_mov_b32_e32 v1, s0
	v_add_co_u32_e32 v0, vcc, s1, v6
	v_addc_co_u32_e32 v1, vcc, v7, v1, vcc
	global_load_dwordx2 v[2:3], v[0:1], off
	global_load_dwordx2 v[44:45], v65, s[12:13] offset:288
	v_mov_b32_e32 v4, s0
	v_add_co_u32_e32 v0, vcc, s1, v0
	v_addc_co_u32_e32 v1, vcc, v1, v4, vcc
	global_load_dwordx2 v[4:5], v[0:1], off
	v_mov_b32_e32 v6, s0
	v_add_co_u32_e32 v0, vcc, s1, v0
	v_addc_co_u32_e32 v1, vcc, v1, v6, vcc
	global_load_dwordx2 v[52:53], v65, s[12:13] offset:360
	global_load_dwordx2 v[6:7], v[0:1], off
	global_load_dwordx2 v[46:47], v65, s[12:13] offset:432
	v_mov_b32_e32 v16, s0
	v_add_co_u32_e32 v0, vcc, s1, v0
	v_addc_co_u32_e32 v1, vcc, v1, v16, vcc
	global_load_dwordx2 v[48:49], v65, s[12:13] offset:504
	global_load_dwordx2 v[16:17], v[0:1], off
	s_mov_b32 s0, 0x24924925
	v_mul_hi_u32 v0, v54, s0
	s_load_dwordx4 s[8:11], s[2:3], 0x0
	v_cmp_gt_u16_e32 vcc, 6, v62
	s_load_dwordx2 s[2:3], s[4:5], 0x38
	v_sub_u32_e32 v1, v54, v0
	v_lshrrev_b32_e32 v1, 1, v1
	v_add_u32_e32 v0, v1, v0
	v_lshrrev_b32_e32 v0, 2, v0
	v_mul_lo_u32 v0, v0, 7
	v_sub_u32_e32 v0, v54, v0
	v_mul_u32_u24_e32 v0, 0x48, v0
	v_lshlrev_b32_e32 v63, 3, v0
	v_add_u32_e32 v61, v65, v63
	s_waitcnt vmcnt(11)
	v_mul_f32_e32 v0, v9, v58
	v_mul_f32_e32 v1, v8, v58
	v_fmac_f32_e32 v0, v8, v57
	v_fma_f32 v1, v9, v57, -v1
	s_waitcnt vmcnt(10)
	v_mul_f32_e32 v8, v11, v56
	v_mul_f32_e32 v9, v10, v56
	v_fmac_f32_e32 v8, v10, v55
	v_fma_f32 v9, v11, v55, -v9
	s_waitcnt vmcnt(9)
	v_mul_f32_e32 v10, v13, v51
	v_mul_f32_e32 v11, v12, v51
	ds_write2_b64 v61, v[0:1], v[8:9] offset1:9
	s_waitcnt vmcnt(8)
	v_mul_f32_e32 v0, v15, v43
	v_mul_f32_e32 v1, v14, v43
	v_fmac_f32_e32 v10, v12, v50
	v_fma_f32 v11, v13, v50, -v11
	v_fmac_f32_e32 v0, v14, v42
	v_fma_f32 v1, v15, v42, -v1
	ds_write2_b64 v61, v[10:11], v[0:1] offset0:18 offset1:27
	s_waitcnt vmcnt(6)
	v_mul_f32_e32 v0, v3, v45
	v_mul_f32_e32 v1, v2, v45
	v_fmac_f32_e32 v0, v2, v44
	v_fma_f32 v1, v3, v44, -v1
	s_waitcnt vmcnt(4)
	v_mul_f32_e32 v2, v5, v53
	v_mul_f32_e32 v3, v4, v53
	v_fmac_f32_e32 v2, v4, v52
	v_fma_f32 v3, v5, v52, -v3
	ds_write2_b64 v61, v[0:1], v[2:3] offset0:36 offset1:45
	s_waitcnt vmcnt(2)
	v_mul_f32_e32 v0, v7, v47
	v_mul_f32_e32 v1, v6, v47
	s_waitcnt vmcnt(0)
	v_mul_f32_e32 v2, v17, v49
	v_mul_f32_e32 v3, v16, v49
	v_fmac_f32_e32 v0, v6, v46
	v_fma_f32 v1, v7, v46, -v1
	v_fmac_f32_e32 v2, v16, v48
	v_fma_f32 v3, v17, v48, -v3
	ds_write2_b64 v61, v[0:1], v[2:3] offset0:54 offset1:63
	s_waitcnt lgkmcnt(0)
	; wave barrier
	s_waitcnt lgkmcnt(0)
	ds_read2_b64 v[0:3], v61 offset1:9
	ds_read2_b64 v[4:7], v61 offset0:36 offset1:45
	ds_read2_b64 v[8:11], v61 offset0:18 offset1:27
	;; [unrolled: 1-line block ×3, first 2 shown]
	s_waitcnt lgkmcnt(0)
	; wave barrier
	s_waitcnt lgkmcnt(0)
	v_sub_f32_e32 v4, v0, v4
	v_sub_f32_e32 v5, v1, v5
	;; [unrolled: 1-line block ×8, first 2 shown]
	v_fma_f32 v0, v0, 2.0, -v4
	v_fma_f32 v1, v1, 2.0, -v5
	;; [unrolled: 1-line block ×8, first 2 shown]
	v_sub_f32_e32 v13, v4, v13
	v_add_f32_e32 v12, v5, v12
	v_sub_f32_e32 v8, v0, v8
	v_sub_f32_e32 v9, v1, v9
	v_fma_f32 v18, v4, 2.0, -v13
	v_fma_f32 v19, v5, 2.0, -v12
	v_sub_f32_e32 v10, v2, v10
	v_sub_f32_e32 v11, v3, v11
	;; [unrolled: 1-line block ×3, first 2 shown]
	v_add_f32_e32 v14, v7, v14
	v_mov_b32_e32 v27, v12
	v_fma_f32 v16, v0, 2.0, -v8
	v_fma_f32 v17, v1, 2.0, -v9
	;; [unrolled: 1-line block ×6, first 2 shown]
	v_mov_b32_e32 v2, v18
	v_mov_b32_e32 v3, v19
	v_fmac_f32_e32 v27, 0x3f3504f3, v14
	v_fmac_f32_e32 v2, 0xbf3504f3, v6
	;; [unrolled: 1-line block ×3, first 2 shown]
	v_mov_b32_e32 v26, v13
	v_fmac_f32_e32 v27, 0x3f3504f3, v15
	v_sub_f32_e32 v0, v16, v0
	v_sub_f32_e32 v1, v17, v1
	v_fmac_f32_e32 v2, 0xbf3504f3, v7
	v_fmac_f32_e32 v3, 0x3f3504f3, v6
	v_sub_f32_e32 v24, v8, v11
	v_add_f32_e32 v25, v9, v10
	v_fmac_f32_e32 v26, 0x3f3504f3, v15
	v_fma_f32 v11, v12, 2.0, -v27
	v_lshlrev_b16_e32 v12, 3, v62
	v_fma_f32 v4, v16, 2.0, -v0
	v_fma_f32 v5, v17, 2.0, -v1
	;; [unrolled: 1-line block ×6, first 2 shown]
	v_fmac_f32_e32 v26, 0xbf3504f3, v14
	v_lshl_add_u32 v66, v12, 3, v63
	v_fma_f32 v10, v13, 2.0, -v26
	ds_write_b128 v66, v[4:7]
	ds_write_b128 v66, v[8:11] offset:16
	ds_write_b128 v66, v[0:3] offset:32
	;; [unrolled: 1-line block ×3, first 2 shown]
	s_waitcnt lgkmcnt(0)
	; wave barrier
	s_waitcnt lgkmcnt(0)
	ds_read2_b64 v[12:15], v61 offset1:9
	ds_read2_b64 v[16:19], v61 offset0:24 offset1:33
	ds_read2_b64 v[6:9], v61 offset0:48 offset1:57
	s_and_saveexec_b64 s[0:1], vcc
	s_cbranch_execz .LBB0_3
; %bb.2:
	ds_read2_b64 v[24:27], v61 offset0:18 offset1:42
	ds_read_b64 v[20:21], v61 offset:528
.LBB0_3:
	s_or_b64 exec, exec, s[0:1]
	v_and_b32_e32 v32, 7, v62
	v_lshlrev_b32_e32 v0, 4, v32
	global_load_dwordx4 v[0:3], v0, s[14:15]
	v_add_co_u32_e64 v22, s[0:1], 9, v62
	v_and_b32_e32 v33, 7, v22
	v_add_co_u32_e64 v64, s[0:1], 18, v62
	v_and_b32_e32 v38, 7, v64
	v_mov_b32_e32 v23, s13
	v_addc_co_u32_e64 v67, s[0:1], 0, 0, s[0:1]
	v_lshl_add_u32 v68, v38, 3, v63
	s_waitcnt vmcnt(0) lgkmcnt(1)
	v_mul_f32_e32 v4, v17, v1
	v_fma_f32 v28, v16, v0, -v4
	s_waitcnt lgkmcnt(0)
	v_mul_f32_e32 v4, v7, v3
	v_fma_f32 v30, v6, v2, -v4
	v_mul_f32_e32 v31, v6, v3
	v_lshlrev_b32_e32 v4, 4, v33
	v_fmac_f32_e32 v31, v7, v2
	global_load_dwordx4 v[4:7], v4, s[14:15]
	v_mul_f32_e32 v29, v16, v1
	v_fmac_f32_e32 v29, v17, v0
	v_add_f32_e32 v17, v28, v30
	s_waitcnt vmcnt(0)
	v_mul_f32_e32 v10, v19, v5
	v_fma_f32 v34, v18, v4, -v10
	v_mul_f32_e32 v10, v9, v7
	v_fma_f32 v36, v8, v6, -v10
	v_mul_f32_e32 v37, v8, v7
	v_lshlrev_b32_e32 v8, 4, v38
	v_fmac_f32_e32 v37, v9, v6
	global_load_dwordx4 v[8:11], v8, s[14:15]
	v_mul_f32_e32 v35, v18, v5
	v_fmac_f32_e32 v35, v19, v4
	v_add_f32_e32 v19, v29, v31
	s_waitcnt lgkmcnt(0)
	; wave barrier
	s_waitcnt vmcnt(0)
	v_mul_f32_e32 v16, v27, v9
	v_fma_f32 v39, v26, v8, -v16
	v_mul_f32_e32 v16, v21, v11
	v_fma_f32 v41, v20, v10, -v16
	v_add_f32_e32 v16, v12, v28
	v_fma_f32 v12, -0.5, v17, v12
	v_sub_f32_e32 v17, v29, v31
	v_mov_b32_e32 v18, v12
	v_mul_f32_e32 v59, v20, v11
	v_fmac_f32_e32 v18, 0x3f5db3d7, v17
	v_fmac_f32_e32 v12, 0xbf5db3d7, v17
	v_add_f32_e32 v17, v13, v29
	v_fma_f32 v13, -0.5, v19, v13
	v_fmac_f32_e32 v59, v21, v10
	v_sub_f32_e32 v20, v28, v30
	v_mov_b32_e32 v19, v13
	v_add_f32_e32 v21, v34, v36
	v_fmac_f32_e32 v19, 0xbf5db3d7, v20
	v_fmac_f32_e32 v13, 0x3f5db3d7, v20
	v_add_f32_e32 v20, v14, v34
	v_fma_f32 v14, -0.5, v21, v14
	v_mul_f32_e32 v40, v26, v9
	v_add_f32_e32 v16, v16, v30
	v_sub_f32_e32 v21, v35, v37
	v_mov_b32_e32 v30, v14
	v_add_f32_e32 v26, v35, v37
	v_fmac_f32_e32 v30, 0x3f5db3d7, v21
	v_fmac_f32_e32 v14, 0xbf5db3d7, v21
	v_add_f32_e32 v21, v15, v35
	v_fmac_f32_e32 v15, -0.5, v26
	v_fmac_f32_e32 v40, v27, v8
	v_add_f32_e32 v17, v17, v31
	v_sub_f32_e32 v26, v34, v36
	v_mov_b32_e32 v31, v15
	v_add_f32_e32 v27, v39, v41
	v_fmac_f32_e32 v31, 0xbf5db3d7, v26
	v_fmac_f32_e32 v15, 0x3f5db3d7, v26
	v_add_f32_e32 v26, v24, v39
	v_fmac_f32_e32 v24, -0.5, v27
	v_sub_f32_e32 v27, v40, v59
	v_mov_b32_e32 v28, v24
	v_add_f32_e32 v29, v40, v59
	v_fmac_f32_e32 v28, 0x3f5db3d7, v27
	v_fmac_f32_e32 v24, 0xbf5db3d7, v27
	v_add_f32_e32 v27, v25, v40
	v_fmac_f32_e32 v25, -0.5, v29
	v_sub_f32_e32 v34, v39, v41
	v_mov_b32_e32 v29, v25
	v_fmac_f32_e32 v29, 0xbf5db3d7, v34
	v_fmac_f32_e32 v25, 0x3f5db3d7, v34
	v_lshrrev_b32_e32 v34, 3, v62
	v_mul_u32_u24_e32 v34, 24, v34
	v_or_b32_e32 v32, v34, v32
	v_lshl_add_u32 v69, v32, 3, v63
	ds_write2_b64 v69, v[16:17], v[18:19] offset1:8
	ds_write_b64 v69, v[12:13] offset:128
	v_lshrrev_b32_e32 v12, 3, v22
	v_mul_u32_u24_e32 v12, 24, v12
	v_or_b32_e32 v12, v12, v33
	v_add_f32_e32 v20, v20, v36
	v_add_f32_e32 v21, v21, v37
	v_add_f32_e32 v26, v26, v41
	v_add_f32_e32 v27, v27, v59
	v_lshl_add_u32 v70, v12, 3, v63
	ds_write2_b64 v70, v[20:21], v[30:31] offset1:8
	ds_write_b64 v70, v[14:15] offset:128
	s_and_saveexec_b64 s[0:1], vcc
	s_cbranch_execz .LBB0_5
; %bb.4:
	v_mov_b32_e32 v12, 0x1c0
	v_lshl_or_b32 v12, v64, 3, v12
	v_add_u32_e32 v12, v63, v12
	ds_write_b64 v12, v[28:29]
	ds_write2_b64 v68, v[26:27], v[24:25] offset0:48 offset1:64
.LBB0_5:
	s_or_b64 exec, exec, s[0:1]
	s_waitcnt lgkmcnt(0)
	; wave barrier
	s_waitcnt lgkmcnt(0)
	ds_read2_b64 v[30:33], v61 offset1:9
	ds_read2_b64 v[34:37], v61 offset0:24 offset1:33
	ds_read2_b64 v[38:41], v61 offset0:48 offset1:57
	v_add_co_u32_e64 v59, s[0:1], s12, v65
	v_addc_co_u32_e64 v60, s[0:1], 0, v23, s[0:1]
	s_and_saveexec_b64 s[0:1], vcc
	s_cbranch_execz .LBB0_7
; %bb.6:
	ds_read2_b64 v[26:29], v61 offset0:18 offset1:42
	ds_read_b64 v[24:25], v61 offset:528
.LBB0_7:
	s_or_b64 exec, exec, s[0:1]
	v_lshlrev_b32_e32 v12, 4, v62
	global_load_dwordx4 v[16:19], v12, s[14:15] offset:128
	v_lshlrev_b32_e32 v12, 4, v22
	global_load_dwordx4 v[20:23], v12, s[14:15] offset:128
	v_add_co_u32_e64 v12, s[0:1], -6, v62
	v_addc_co_u32_e64 v13, s[0:1], 0, -1, s[0:1]
	v_cndmask_b32_e32 v13, v13, v67, vcc
	v_cndmask_b32_e32 v12, v12, v64, vcc
	v_lshlrev_b64 v[12:13], 4, v[12:13]
	v_mov_b32_e32 v14, s15
	v_add_co_u32_e64 v12, s[0:1], s14, v12
	v_addc_co_u32_e64 v13, s[0:1], v14, v13, s[0:1]
	global_load_dwordx4 v[12:15], v[12:13], off offset:128
	v_lshl_add_u32 v67, v62, 3, v63
	s_waitcnt vmcnt(2) lgkmcnt(1)
	v_mul_f32_e32 v71, v35, v17
	v_mul_f32_e32 v72, v34, v17
	s_waitcnt lgkmcnt(0)
	v_mul_f32_e32 v73, v39, v19
	v_mul_f32_e32 v74, v38, v19
	s_waitcnt vmcnt(1)
	v_mul_f32_e32 v75, v37, v21
	v_mul_f32_e32 v76, v36, v21
	;; [unrolled: 1-line block ×4, first 2 shown]
	v_fma_f32 v34, v34, v16, -v71
	v_fmac_f32_e32 v72, v35, v16
	v_fma_f32 v35, v38, v18, -v73
	v_fmac_f32_e32 v74, v39, v18
	;; [unrolled: 2-line block ×4, first 2 shown]
	v_add_f32_e32 v37, v30, v34
	v_add_f32_e32 v38, v34, v35
	;; [unrolled: 1-line block ×4, first 2 shown]
	v_sub_f32_e32 v77, v34, v35
	v_add_f32_e32 v34, v32, v36
	v_sub_f32_e32 v75, v72, v74
	v_add_f32_e32 v71, v36, v40
	;; [unrolled: 2-line block ×3, first 2 shown]
	v_add_f32_e32 v73, v76, v78
	v_sub_f32_e32 v76, v36, v40
	v_add_f32_e32 v36, v37, v35
	v_fma_f32 v38, -0.5, v38, v30
	v_add_f32_e32 v37, v39, v74
	v_fma_f32 v39, -0.5, v41, v31
	v_add_f32_e32 v40, v34, v40
	s_waitcnt vmcnt(0)
	v_mul_f32_e32 v34, v29, v13
	v_mul_f32_e32 v30, v28, v13
	v_mul_f32_e32 v35, v25, v15
	v_mul_f32_e32 v31, v24, v15
	v_fma_f32 v32, -0.5, v71, v32
	v_add_f32_e32 v41, v72, v78
	v_mov_b32_e32 v71, v38
	v_mov_b32_e32 v72, v39
	v_fma_f32 v34, v28, v12, -v34
	v_fmac_f32_e32 v30, v29, v12
	v_fma_f32 v24, v24, v14, -v35
	v_fmac_f32_e32 v31, v25, v14
	v_fmac_f32_e32 v38, 0xbf5db3d7, v75
	;; [unrolled: 1-line block ×5, first 2 shown]
	v_add_f32_e32 v28, v34, v24
	v_add_f32_e32 v29, v30, v31
	v_fmac_f32_e32 v33, -0.5, v73
	ds_write2_b64 v67, v[71:72], v[38:39] offset0:24 offset1:48
	ds_write2_b64 v61, v[36:37], v[40:41] offset1:9
	v_fma_f32 v36, -0.5, v28, v26
	v_fma_f32 v37, -0.5, v29, v27
	v_mov_b32_e32 v73, v32
	v_mov_b32_e32 v74, v33
	v_sub_f32_e32 v25, v30, v31
	v_sub_f32_e32 v35, v34, v24
	v_mov_b32_e32 v28, v36
	v_mov_b32_e32 v29, v37
	v_fmac_f32_e32 v32, 0xbf5db3d7, v79
	v_fmac_f32_e32 v33, 0x3f5db3d7, v76
	v_fmac_f32_e32 v73, 0x3f5db3d7, v79
	v_fmac_f32_e32 v74, 0xbf5db3d7, v76
	v_fmac_f32_e32 v28, 0xbf5db3d7, v25
	v_fmac_f32_e32 v29, 0x3f5db3d7, v35
	ds_write2_b64 v61, v[73:74], v[32:33] offset0:33 offset1:57
	s_and_saveexec_b64 s[0:1], vcc
	s_cbranch_execz .LBB0_9
; %bb.8:
	v_mul_f32_e32 v32, 0x3f5db3d7, v25
	v_add_f32_e32 v25, v27, v30
	v_add_f32_e32 v26, v26, v34
	v_mul_f32_e32 v33, 0x3f5db3d7, v35
	v_add_f32_e32 v25, v25, v31
	v_add_f32_e32 v24, v26, v24
	v_sub_f32_e32 v27, v37, v33
	v_add_f32_e32 v26, v32, v36
	ds_write_b64 v61, v[24:25] offset:144
	ds_write2_b64 v67, v[26:27], v[28:29] offset0:42 offset1:66
.LBB0_9:
	s_or_b64 exec, exec, s[0:1]
	s_waitcnt lgkmcnt(0)
	; wave barrier
	s_waitcnt lgkmcnt(0)
	global_load_dwordx2 v[30:31], v[59:60], off offset:576
	ds_read2_b64 v[24:27], v61 offset1:9
	s_add_u32 s0, s12, 0x240
	s_addc_u32 s1, s13, 0
	s_waitcnt vmcnt(0) lgkmcnt(0)
	v_mul_f32_e32 v32, v25, v31
	v_mul_f32_e32 v33, v24, v31
	v_fma_f32 v32, v24, v30, -v32
	v_fmac_f32_e32 v33, v25, v30
	global_load_dwordx2 v[24:25], v65, s[0:1] offset:72
	s_waitcnt vmcnt(0)
	v_mul_f32_e32 v30, v27, v25
	v_mul_f32_e32 v31, v26, v25
	v_fma_f32 v30, v26, v24, -v30
	v_fmac_f32_e32 v31, v27, v24
	global_load_dwordx2 v[26:27], v65, s[0:1] offset:144
	ds_read_b64 v[24:25], v67 offset:144
	ds_write2_b64 v61, v[32:33], v[30:31] offset1:9
	s_waitcnt vmcnt(0) lgkmcnt(1)
	v_mul_f32_e32 v30, v25, v27
	v_mul_f32_e32 v31, v24, v27
	v_fma_f32 v30, v24, v26, -v30
	v_fmac_f32_e32 v31, v25, v26
	ds_write_b64 v67, v[30:31] offset:144
	global_load_dwordx2 v[30:31], v65, s[0:1] offset:216
	ds_read2_b64 v[24:27], v61 offset0:27 offset1:36
	s_waitcnt vmcnt(0) lgkmcnt(0)
	v_mul_f32_e32 v32, v25, v31
	v_mul_f32_e32 v33, v24, v31
	v_fma_f32 v32, v24, v30, -v32
	v_fmac_f32_e32 v33, v25, v30
	global_load_dwordx2 v[24:25], v65, s[0:1] offset:288
	s_waitcnt vmcnt(0)
	v_mul_f32_e32 v30, v27, v25
	v_mul_f32_e32 v31, v26, v25
	v_fma_f32 v30, v26, v24, -v30
	v_fmac_f32_e32 v31, v27, v24
	ds_write2_b64 v61, v[32:33], v[30:31] offset0:27 offset1:36
	global_load_dwordx2 v[30:31], v65, s[0:1] offset:360
	ds_read2_b64 v[24:27], v61 offset0:45 offset1:54
	s_waitcnt vmcnt(0) lgkmcnt(0)
	v_mul_f32_e32 v32, v25, v31
	v_mul_f32_e32 v33, v24, v31
	v_fma_f32 v32, v24, v30, -v32
	v_fmac_f32_e32 v33, v25, v30
	global_load_dwordx2 v[24:25], v65, s[0:1] offset:432
	s_waitcnt vmcnt(0)
	v_mul_f32_e32 v30, v27, v25
	v_mul_f32_e32 v31, v26, v25
	v_fma_f32 v30, v26, v24, -v30
	v_fmac_f32_e32 v31, v27, v24
	global_load_dwordx2 v[26:27], v65, s[0:1] offset:504
	ds_read_b64 v[24:25], v61 offset:504
	ds_write2_b64 v61, v[32:33], v[30:31] offset0:45 offset1:54
	s_waitcnt vmcnt(0) lgkmcnt(1)
	v_mul_f32_e32 v30, v25, v27
	v_mul_f32_e32 v31, v24, v27
	v_fma_f32 v30, v24, v26, -v30
	v_fmac_f32_e32 v31, v25, v26
	ds_write_b64 v61, v[30:31] offset:504
	s_waitcnt lgkmcnt(0)
	; wave barrier
	s_waitcnt lgkmcnt(0)
	ds_read2_b64 v[24:27], v61 offset1:9
	ds_read_b64 v[38:39], v67 offset:144
	ds_read2_b64 v[30:33], v61 offset0:27 offset1:36
	ds_read2_b64 v[34:37], v61 offset0:45 offset1:54
	ds_read_b64 v[40:41], v61 offset:504
	s_waitcnt lgkmcnt(0)
	; wave barrier
	s_waitcnt lgkmcnt(0)
	v_sub_f32_e32 v32, v24, v32
	v_sub_f32_e32 v33, v25, v33
	;; [unrolled: 1-line block ×8, first 2 shown]
	v_fma_f32 v24, v24, 2.0, -v32
	v_fma_f32 v25, v25, 2.0, -v33
	;; [unrolled: 1-line block ×8, first 2 shown]
	v_sub_f32_e32 v38, v24, v38
	v_sub_f32_e32 v39, v25, v39
	v_add_f32_e32 v59, v32, v37
	v_sub_f32_e32 v60, v33, v36
	v_sub_f32_e32 v65, v26, v30
	;; [unrolled: 1-line block ×3, first 2 shown]
	v_fma_f32 v24, v24, 2.0, -v38
	v_fma_f32 v25, v25, 2.0, -v39
	;; [unrolled: 1-line block ×6, first 2 shown]
	v_add_f32_e32 v41, v34, v41
	v_sub_f32_e32 v40, v35, v40
	v_fma_f32 v72, v34, 2.0, -v41
	v_fma_f32 v73, v35, 2.0, -v40
	v_sub_f32_e32 v30, v24, v26
	v_sub_f32_e32 v31, v25, v27
	v_mov_b32_e32 v32, v36
	v_mov_b32_e32 v33, v37
	;; [unrolled: 1-line block ×4, first 2 shown]
	v_fmac_f32_e32 v32, 0xbf3504f3, v72
	v_fmac_f32_e32 v33, 0xbf3504f3, v73
	;; [unrolled: 1-line block ×4, first 2 shown]
	v_fma_f32 v34, v24, 2.0, -v30
	v_fma_f32 v35, v25, 2.0, -v31
	v_fmac_f32_e32 v32, 0x3f3504f3, v73
	v_fmac_f32_e32 v33, 0xbf3504f3, v72
	v_add_f32_e32 v24, v38, v71
	v_sub_f32_e32 v25, v39, v65
	v_fmac_f32_e32 v26, 0x3f3504f3, v40
	v_fmac_f32_e32 v27, 0xbf3504f3, v41
	v_fma_f32 v36, v36, 2.0, -v32
	v_fma_f32 v37, v37, 2.0, -v33
	;; [unrolled: 1-line block ×6, first 2 shown]
	ds_write_b128 v66, v[34:37]
	ds_write_b128 v66, v[38:41] offset:16
	ds_write_b128 v66, v[30:33] offset:32
	;; [unrolled: 1-line block ×3, first 2 shown]
	s_waitcnt lgkmcnt(0)
	; wave barrier
	s_waitcnt lgkmcnt(0)
	ds_read2_b64 v[30:33], v61 offset1:9
	ds_read2_b64 v[38:41], v61 offset0:24 offset1:33
	ds_read2_b64 v[34:37], v61 offset0:48 offset1:57
	s_and_saveexec_b64 s[0:1], vcc
	s_cbranch_execz .LBB0_11
; %bb.10:
	ds_read2_b64 v[26:29], v61 offset0:42 offset1:66
	ds_read_b64 v[24:25], v67 offset:144
.LBB0_11:
	s_or_b64 exec, exec, s[0:1]
	s_waitcnt lgkmcnt(1)
	v_mul_f32_e32 v59, v1, v39
	v_mul_f32_e32 v1, v1, v38
	v_fmac_f32_e32 v59, v0, v38
	v_fma_f32 v0, v0, v39, -v1
	s_waitcnt lgkmcnt(0)
	v_mul_f32_e32 v1, v3, v35
	v_fmac_f32_e32 v1, v2, v34
	v_mul_f32_e32 v3, v3, v34
	v_fma_f32 v34, v2, v35, -v3
	v_mul_f32_e32 v35, v5, v41
	v_mul_f32_e32 v2, v5, v40
	v_add_f32_e32 v3, v59, v1
	v_fmac_f32_e32 v35, v4, v40
	v_fma_f32 v38, v4, v41, -v2
	v_mul_f32_e32 v39, v7, v37
	v_mul_f32_e32 v2, v7, v36
	v_fma_f32 v4, -0.5, v3, v30
	v_fmac_f32_e32 v39, v6, v36
	v_fma_f32 v36, v6, v37, -v2
	v_sub_f32_e32 v3, v0, v34
	v_mov_b32_e32 v6, v4
	v_fmac_f32_e32 v6, 0xbf5db3d7, v3
	v_fmac_f32_e32 v4, 0x3f5db3d7, v3
	v_add_f32_e32 v3, v31, v0
	v_add_f32_e32 v0, v0, v34
	v_fma_f32 v5, -0.5, v0, v31
	v_sub_f32_e32 v0, v59, v1
	v_mov_b32_e32 v7, v5
	v_mul_f32_e32 v37, v9, v27
	v_mul_f32_e32 v2, v9, v26
	v_fmac_f32_e32 v7, 0x3f5db3d7, v0
	v_fmac_f32_e32 v5, 0xbf5db3d7, v0
	v_add_f32_e32 v0, v32, v35
	v_fmac_f32_e32 v37, v8, v26
	v_fma_f32 v26, v8, v27, -v2
	v_add_f32_e32 v8, v0, v39
	v_add_f32_e32 v0, v35, v39
	v_mul_f32_e32 v27, v11, v29
	v_mul_f32_e32 v2, v11, v28
	v_fma_f32 v32, -0.5, v0, v32
	v_fmac_f32_e32 v27, v10, v28
	v_fma_f32 v28, v10, v29, -v2
	v_sub_f32_e32 v0, v38, v36
	v_mov_b32_e32 v10, v32
	v_fmac_f32_e32 v10, 0xbf5db3d7, v0
	v_fmac_f32_e32 v32, 0x3f5db3d7, v0
	v_add_f32_e32 v0, v33, v38
	v_add_f32_e32 v9, v0, v36
	v_add_f32_e32 v0, v38, v36
	v_fmac_f32_e32 v33, -0.5, v0
	v_sub_f32_e32 v0, v35, v39
	v_mov_b32_e32 v11, v33
	v_fmac_f32_e32 v11, 0x3f5db3d7, v0
	v_fmac_f32_e32 v33, 0xbf5db3d7, v0
	v_add_f32_e32 v0, v37, v24
	v_add_f32_e32 v2, v30, v59
	;; [unrolled: 1-line block ×4, first 2 shown]
	v_fmac_f32_e32 v24, -0.5, v0
	v_add_f32_e32 v2, v2, v1
	v_sub_f32_e32 v1, v26, v28
	v_mov_b32_e32 v0, v24
	v_fmac_f32_e32 v0, 0xbf5db3d7, v1
	v_fmac_f32_e32 v24, 0x3f5db3d7, v1
	v_add_f32_e32 v1, v26, v25
	v_add_f32_e32 v31, v28, v1
	;; [unrolled: 1-line block ×3, first 2 shown]
	v_fmac_f32_e32 v25, -0.5, v1
	v_sub_f32_e32 v26, v37, v27
	v_mov_b32_e32 v1, v25
	v_add_f32_e32 v3, v3, v34
	v_fmac_f32_e32 v1, 0x3f5db3d7, v26
	v_fmac_f32_e32 v25, 0xbf5db3d7, v26
	s_waitcnt lgkmcnt(0)
	; wave barrier
	ds_write2_b64 v69, v[2:3], v[6:7] offset1:8
	ds_write_b64 v69, v[4:5] offset:128
	ds_write2_b64 v70, v[8:9], v[10:11] offset1:8
	ds_write_b64 v70, v[32:33] offset:128
	s_and_saveexec_b64 s[0:1], vcc
	s_cbranch_execz .LBB0_13
; %bb.12:
	v_mov_b32_e32 v2, 0x1c0
	v_lshl_or_b32 v2, v64, 3, v2
	v_add_u32_e32 v2, v63, v2
	ds_write_b64 v2, v[0:1]
	ds_write2_b64 v68, v[30:31], v[24:25] offset0:48 offset1:64
.LBB0_13:
	s_or_b64 exec, exec, s[0:1]
	s_waitcnt lgkmcnt(0)
	; wave barrier
	s_waitcnt lgkmcnt(0)
	ds_read2_b64 v[4:7], v61 offset1:9
	ds_read2_b64 v[26:29], v61 offset0:24 offset1:33
	ds_read2_b64 v[8:11], v61 offset0:48 offset1:57
	v_add_u32_e32 v32, 0x48, v61
	s_and_saveexec_b64 s[0:1], vcc
	s_cbranch_execz .LBB0_15
; %bb.14:
	ds_read2_b64 v[0:3], v61 offset0:42 offset1:66
	ds_read_b64 v[30:31], v67 offset:144
	s_waitcnt lgkmcnt(1)
	v_mov_b32_e32 v24, v2
	v_mov_b32_e32 v25, v3
.LBB0_15:
	s_or_b64 exec, exec, s[0:1]
	s_waitcnt lgkmcnt(1)
	v_mul_f32_e32 v33, v17, v27
	v_mul_f32_e32 v2, v17, v26
	v_fmac_f32_e32 v33, v16, v26
	v_fma_f32 v16, v16, v27, -v2
	s_waitcnt lgkmcnt(0)
	v_mul_f32_e32 v17, v19, v9
	v_mul_f32_e32 v2, v19, v8
	v_fmac_f32_e32 v17, v18, v8
	v_fma_f32 v9, v18, v9, -v2
	v_mul_f32_e32 v2, v21, v28
	v_fma_f32 v19, v20, v29, -v2
	v_mul_f32_e32 v2, v23, v10
	v_add_f32_e32 v3, v33, v17
	v_mul_f32_e32 v18, v21, v29
	v_fma_f32 v21, v22, v11, -v2
	v_add_f32_e32 v2, v4, v33
	v_fma_f32 v4, -0.5, v3, v4
	v_sub_f32_e32 v3, v16, v9
	v_mov_b32_e32 v8, v4
	v_fmac_f32_e32 v8, 0xbf5db3d7, v3
	v_fmac_f32_e32 v4, 0x3f5db3d7, v3
	v_add_f32_e32 v3, v5, v16
	v_fmac_f32_e32 v18, v20, v28
	v_mul_f32_e32 v20, v23, v11
	v_add_f32_e32 v3, v3, v9
	v_add_f32_e32 v9, v16, v9
	v_fmac_f32_e32 v20, v22, v10
	v_fma_f32 v5, -0.5, v9, v5
	v_sub_f32_e32 v10, v33, v17
	v_mov_b32_e32 v9, v5
	v_add_f32_e32 v11, v18, v20
	v_fmac_f32_e32 v9, 0x3f5db3d7, v10
	v_fmac_f32_e32 v5, 0xbf5db3d7, v10
	v_add_f32_e32 v10, v6, v18
	v_fma_f32 v6, -0.5, v11, v6
	v_add_f32_e32 v2, v2, v17
	v_sub_f32_e32 v11, v19, v21
	v_mov_b32_e32 v16, v6
	v_add_f32_e32 v17, v19, v21
	v_fmac_f32_e32 v16, 0xbf5db3d7, v11
	v_fmac_f32_e32 v6, 0x3f5db3d7, v11
	v_add_f32_e32 v11, v7, v19
	v_fmac_f32_e32 v7, -0.5, v17
	v_sub_f32_e32 v18, v18, v20
	v_mov_b32_e32 v17, v7
	v_add_f32_e32 v10, v10, v20
	v_add_f32_e32 v11, v11, v21
	v_fmac_f32_e32 v17, 0x3f5db3d7, v18
	v_fmac_f32_e32 v7, 0xbf5db3d7, v18
	ds_write_b64 v61, v[2:3]
	ds_write2_b64 v67, v[8:9], v[4:5] offset0:24 offset1:48
	ds_write_b64 v61, v[10:11] offset:72
	ds_write2_b64 v32, v[16:17], v[6:7] offset0:24 offset1:48
	s_and_saveexec_b64 s[0:1], vcc
	s_cbranch_execz .LBB0_17
; %bb.16:
	v_mul_f32_e32 v2, v15, v24
	v_mul_f32_e32 v6, v13, v1
	v_fma_f32 v3, v14, v25, -v2
	v_mul_f32_e32 v2, v13, v0
	v_fmac_f32_e32 v6, v12, v0
	v_mul_f32_e32 v7, v15, v25
	v_fma_f32 v5, v12, v1, -v2
	v_add_f32_e32 v0, v6, v30
	v_fmac_f32_e32 v7, v14, v24
	v_add_f32_e32 v1, v0, v7
	v_add_f32_e32 v0, v5, v3
	;; [unrolled: 1-line block ×3, first 2 shown]
	v_fmac_f32_e32 v31, -0.5, v0
	v_sub_f32_e32 v0, v6, v7
	v_mov_b32_e32 v4, v31
	v_fmac_f32_e32 v4, 0xbf5db3d7, v0
	v_fmac_f32_e32 v31, 0x3f5db3d7, v0
	v_add_f32_e32 v0, v6, v7
	v_fmac_f32_e32 v30, -0.5, v0
	v_add_f32_e32 v2, v3, v2
	v_sub_f32_e32 v0, v5, v3
	v_mov_b32_e32 v3, v30
	v_fmac_f32_e32 v3, 0x3f5db3d7, v0
	v_fmac_f32_e32 v30, 0xbf5db3d7, v0
	ds_write_b64 v67, v[1:2] offset:144
	ds_write2_b64 v67, v[30:31], v[3:4] offset0:42 offset1:66
.LBB0_17:
	s_or_b64 exec, exec, s[0:1]
	s_waitcnt lgkmcnt(0)
	; wave barrier
	s_waitcnt lgkmcnt(0)
	ds_read2_b64 v[0:3], v61 offset1:9
	v_mad_u64_u32 v[4:5], s[0:1], s10, v54, 0
	s_mov_b32 s0, 0x1c71c71c
	s_mov_b32 s1, 0x3f8c71c7
	s_waitcnt lgkmcnt(0)
	v_mul_f32_e32 v6, v58, v1
	v_fmac_f32_e32 v6, v57, v0
	v_cvt_f64_f32_e32 v[6:7], v6
	v_mul_f32_e32 v0, v58, v0
	v_fma_f32 v0, v57, v1, -v0
	v_cvt_f64_f32_e32 v[0:1], v0
	v_mul_f64 v[6:7], v[6:7], s[0:1]
	v_mad_u64_u32 v[8:9], s[4:5], s8, v62, 0
	v_mul_f64 v[0:1], v[0:1], s[0:1]
	v_mad_u64_u32 v[10:11], s[4:5], s11, v54, v[5:6]
	v_mov_b32_e32 v5, v9
	v_mad_u64_u32 v[11:12], s[4:5], s9, v62, v[5:6]
	v_mov_b32_e32 v5, v10
	v_cvt_f32_f64_e32 v6, v[6:7]
	v_cvt_f32_f64_e32 v7, v[0:1]
	v_lshlrev_b64 v[0:1], 3, v[4:5]
	v_mul_f32_e32 v4, v56, v3
	v_fmac_f32_e32 v4, v55, v2
	v_cvt_f64_f32_e32 v[4:5], v4
	v_mov_b32_e32 v9, v11
	v_mov_b32_e32 v10, s3
	v_mul_f32_e32 v2, v56, v2
	v_add_co_u32_e32 v11, vcc, s2, v0
	v_fma_f32 v2, v55, v3, -v2
	v_addc_co_u32_e32 v10, vcc, v10, v1, vcc
	v_mul_f64 v[0:1], v[4:5], s[0:1]
	v_cvt_f64_f32_e32 v[2:3], v2
	v_lshlrev_b64 v[4:5], 3, v[8:9]
	ds_read_b64 v[8:9], v61 offset:504
	v_add_co_u32_e32 v4, vcc, v11, v4
	v_mul_f64 v[2:3], v[2:3], s[0:1]
	v_addc_co_u32_e32 v5, vcc, v10, v5, vcc
	global_store_dwordx2 v[4:5], v[6:7], off
	v_cvt_f32_f64_e32 v6, v[0:1]
	ds_read_b64 v[0:1], v67 offset:144
	s_mul_i32 s2, s9, 0x48
	s_mul_hi_u32 s3, s8, 0x48
	v_cvt_f32_f64_e32 v7, v[2:3]
	s_add_i32 s2, s3, s2
	s_waitcnt lgkmcnt(0)
	v_mul_f32_e32 v2, v51, v1
	v_fmac_f32_e32 v2, v50, v0
	v_mul_f32_e32 v0, v51, v0
	v_fma_f32 v0, v50, v1, -v0
	v_cvt_f64_f32_e32 v[10:11], v2
	v_cvt_f64_f32_e32 v[12:13], v0
	ds_read2_b64 v[0:3], v61 offset0:27 offset1:36
	s_mul_i32 s3, s8, 0x48
	v_mov_b32_e32 v14, s2
	v_add_co_u32_e32 v4, vcc, s3, v4
	v_addc_co_u32_e32 v5, vcc, v5, v14, vcc
	global_store_dwordx2 v[4:5], v[6:7], off
	v_mul_f64 v[6:7], v[10:11], s[0:1]
	v_mul_f64 v[10:11], v[12:13], s[0:1]
	s_waitcnt lgkmcnt(0)
	v_mul_f32_e32 v12, v43, v1
	v_fmac_f32_e32 v12, v42, v0
	v_mul_f32_e32 v0, v43, v0
	v_fma_f32 v0, v42, v1, -v0
	v_cvt_f64_f32_e32 v[0:1], v0
	v_cvt_f64_f32_e32 v[12:13], v12
	v_cvt_f32_f64_e32 v6, v[6:7]
	v_cvt_f32_f64_e32 v7, v[10:11]
	v_mul_f64 v[0:1], v[0:1], s[0:1]
	v_mul_f64 v[10:11], v[12:13], s[0:1]
	v_mov_b32_e32 v12, s2
	v_add_co_u32_e32 v4, vcc, s3, v4
	v_addc_co_u32_e32 v5, vcc, v5, v12, vcc
	global_store_dwordx2 v[4:5], v[6:7], off
	v_cvt_f32_f64_e32 v7, v[0:1]
	v_mul_f32_e32 v0, v45, v3
	v_fmac_f32_e32 v0, v44, v2
	v_cvt_f32_f64_e32 v6, v[10:11]
	v_cvt_f64_f32_e32 v[10:11], v0
	v_mul_f32_e32 v0, v45, v2
	v_fma_f32 v0, v44, v3, -v0
	v_cvt_f64_f32_e32 v[12:13], v0
	ds_read2_b64 v[0:3], v61 offset0:45 offset1:54
	v_add_co_u32_e32 v4, vcc, s3, v4
	v_addc_co_u32_e32 v5, vcc, v5, v14, vcc
	global_store_dwordx2 v[4:5], v[6:7], off
	v_mul_f64 v[6:7], v[10:11], s[0:1]
	v_mul_f64 v[10:11], v[12:13], s[0:1]
	s_waitcnt lgkmcnt(0)
	v_mul_f32_e32 v12, v53, v1
	v_fmac_f32_e32 v12, v52, v0
	v_mul_f32_e32 v0, v53, v0
	v_fma_f32 v0, v52, v1, -v0
	v_cvt_f64_f32_e32 v[0:1], v0
	v_cvt_f64_f32_e32 v[12:13], v12
	v_cvt_f32_f64_e32 v6, v[6:7]
	v_cvt_f32_f64_e32 v7, v[10:11]
	v_mul_f64 v[0:1], v[0:1], s[0:1]
	v_mul_f64 v[10:11], v[12:13], s[0:1]
	v_mov_b32_e32 v12, s2
	v_add_co_u32_e32 v4, vcc, s3, v4
	v_addc_co_u32_e32 v5, vcc, v5, v12, vcc
	global_store_dwordx2 v[4:5], v[6:7], off
	v_cvt_f32_f64_e32 v7, v[0:1]
	v_mul_f32_e32 v0, v47, v3
	v_fmac_f32_e32 v0, v46, v2
	v_mul_f32_e32 v2, v47, v2
	v_fma_f32 v2, v46, v3, -v2
	v_cvt_f64_f32_e32 v[0:1], v0
	v_cvt_f64_f32_e32 v[2:3], v2
	v_cvt_f32_f64_e32 v6, v[10:11]
	v_mov_b32_e32 v10, s2
	v_add_co_u32_e32 v4, vcc, s3, v4
	v_addc_co_u32_e32 v5, vcc, v5, v10, vcc
	v_mul_f64 v[0:1], v[0:1], s[0:1]
	v_mul_f64 v[2:3], v[2:3], s[0:1]
	global_store_dwordx2 v[4:5], v[6:7], off
	v_mul_f32_e32 v6, v49, v9
	v_fmac_f32_e32 v6, v48, v8
	v_mul_f32_e32 v8, v49, v8
	v_fma_f32 v8, v48, v9, -v8
	v_cvt_f64_f32_e32 v[6:7], v6
	v_cvt_f64_f32_e32 v[8:9], v8
	v_cvt_f32_f64_e32 v0, v[0:1]
	v_cvt_f32_f64_e32 v1, v[2:3]
	v_mul_f64 v[2:3], v[6:7], s[0:1]
	v_mul_f64 v[6:7], v[8:9], s[0:1]
	v_mov_b32_e32 v8, s2
	v_add_co_u32_e32 v4, vcc, s3, v4
	v_addc_co_u32_e32 v5, vcc, v5, v8, vcc
	global_store_dwordx2 v[4:5], v[0:1], off
	v_cvt_f32_f64_e32 v0, v[2:3]
	v_cvt_f32_f64_e32 v1, v[6:7]
	v_mov_b32_e32 v3, s2
	v_add_co_u32_e32 v2, vcc, s3, v4
	v_addc_co_u32_e32 v3, vcc, v5, v3, vcc
	global_store_dwordx2 v[2:3], v[0:1], off
.LBB0_18:
	s_endpgm
	.section	.rodata,"a",@progbits
	.p2align	6, 0x0
	.amdhsa_kernel bluestein_single_back_len72_dim1_sp_op_CI_CI
		.amdhsa_group_segment_fixed_size 4032
		.amdhsa_private_segment_fixed_size 0
		.amdhsa_kernarg_size 104
		.amdhsa_user_sgpr_count 6
		.amdhsa_user_sgpr_private_segment_buffer 1
		.amdhsa_user_sgpr_dispatch_ptr 0
		.amdhsa_user_sgpr_queue_ptr 0
		.amdhsa_user_sgpr_kernarg_segment_ptr 1
		.amdhsa_user_sgpr_dispatch_id 0
		.amdhsa_user_sgpr_flat_scratch_init 0
		.amdhsa_user_sgpr_private_segment_size 0
		.amdhsa_uses_dynamic_stack 0
		.amdhsa_system_sgpr_private_segment_wavefront_offset 0
		.amdhsa_system_sgpr_workgroup_id_x 1
		.amdhsa_system_sgpr_workgroup_id_y 0
		.amdhsa_system_sgpr_workgroup_id_z 0
		.amdhsa_system_sgpr_workgroup_info 0
		.amdhsa_system_vgpr_workitem_id 0
		.amdhsa_next_free_vgpr 80
		.amdhsa_next_free_sgpr 20
		.amdhsa_reserve_vcc 1
		.amdhsa_reserve_flat_scratch 0
		.amdhsa_float_round_mode_32 0
		.amdhsa_float_round_mode_16_64 0
		.amdhsa_float_denorm_mode_32 3
		.amdhsa_float_denorm_mode_16_64 3
		.amdhsa_dx10_clamp 1
		.amdhsa_ieee_mode 1
		.amdhsa_fp16_overflow 0
		.amdhsa_exception_fp_ieee_invalid_op 0
		.amdhsa_exception_fp_denorm_src 0
		.amdhsa_exception_fp_ieee_div_zero 0
		.amdhsa_exception_fp_ieee_overflow 0
		.amdhsa_exception_fp_ieee_underflow 0
		.amdhsa_exception_fp_ieee_inexact 0
		.amdhsa_exception_int_div_zero 0
	.end_amdhsa_kernel
	.text
.Lfunc_end0:
	.size	bluestein_single_back_len72_dim1_sp_op_CI_CI, .Lfunc_end0-bluestein_single_back_len72_dim1_sp_op_CI_CI
                                        ; -- End function
	.section	.AMDGPU.csdata,"",@progbits
; Kernel info:
; codeLenInByte = 5028
; NumSgprs: 24
; NumVgprs: 80
; ScratchSize: 0
; MemoryBound: 0
; FloatMode: 240
; IeeeMode: 1
; LDSByteSize: 4032 bytes/workgroup (compile time only)
; SGPRBlocks: 2
; VGPRBlocks: 19
; NumSGPRsForWavesPerEU: 24
; NumVGPRsForWavesPerEU: 80
; Occupancy: 3
; WaveLimiterHint : 1
; COMPUTE_PGM_RSRC2:SCRATCH_EN: 0
; COMPUTE_PGM_RSRC2:USER_SGPR: 6
; COMPUTE_PGM_RSRC2:TRAP_HANDLER: 0
; COMPUTE_PGM_RSRC2:TGID_X_EN: 1
; COMPUTE_PGM_RSRC2:TGID_Y_EN: 0
; COMPUTE_PGM_RSRC2:TGID_Z_EN: 0
; COMPUTE_PGM_RSRC2:TIDIG_COMP_CNT: 0
	.type	__hip_cuid_8195d4be7fcdf41b,@object ; @__hip_cuid_8195d4be7fcdf41b
	.section	.bss,"aw",@nobits
	.globl	__hip_cuid_8195d4be7fcdf41b
__hip_cuid_8195d4be7fcdf41b:
	.byte	0                               ; 0x0
	.size	__hip_cuid_8195d4be7fcdf41b, 1

	.ident	"AMD clang version 19.0.0git (https://github.com/RadeonOpenCompute/llvm-project roc-6.4.0 25133 c7fe45cf4b819c5991fe208aaa96edf142730f1d)"
	.section	".note.GNU-stack","",@progbits
	.addrsig
	.addrsig_sym __hip_cuid_8195d4be7fcdf41b
	.amdgpu_metadata
---
amdhsa.kernels:
  - .args:
      - .actual_access:  read_only
        .address_space:  global
        .offset:         0
        .size:           8
        .value_kind:     global_buffer
      - .actual_access:  read_only
        .address_space:  global
        .offset:         8
        .size:           8
        .value_kind:     global_buffer
      - .actual_access:  read_only
        .address_space:  global
        .offset:         16
        .size:           8
        .value_kind:     global_buffer
      - .actual_access:  read_only
        .address_space:  global
        .offset:         24
        .size:           8
        .value_kind:     global_buffer
      - .actual_access:  read_only
        .address_space:  global
        .offset:         32
        .size:           8
        .value_kind:     global_buffer
      - .offset:         40
        .size:           8
        .value_kind:     by_value
      - .address_space:  global
        .offset:         48
        .size:           8
        .value_kind:     global_buffer
      - .address_space:  global
        .offset:         56
        .size:           8
        .value_kind:     global_buffer
      - .address_space:  global
        .offset:         64
        .size:           8
        .value_kind:     global_buffer
      - .address_space:  global
        .offset:         72
        .size:           8
        .value_kind:     global_buffer
      - .offset:         80
        .size:           4
        .value_kind:     by_value
      - .address_space:  global
        .offset:         88
        .size:           8
        .value_kind:     global_buffer
      - .address_space:  global
        .offset:         96
        .size:           8
        .value_kind:     global_buffer
    .group_segment_fixed_size: 4032
    .kernarg_segment_align: 8
    .kernarg_segment_size: 104
    .language:       OpenCL C
    .language_version:
      - 2
      - 0
    .max_flat_workgroup_size: 63
    .name:           bluestein_single_back_len72_dim1_sp_op_CI_CI
    .private_segment_fixed_size: 0
    .sgpr_count:     24
    .sgpr_spill_count: 0
    .symbol:         bluestein_single_back_len72_dim1_sp_op_CI_CI.kd
    .uniform_work_group_size: 1
    .uses_dynamic_stack: false
    .vgpr_count:     80
    .vgpr_spill_count: 0
    .wavefront_size: 64
amdhsa.target:   amdgcn-amd-amdhsa--gfx906
amdhsa.version:
  - 1
  - 2
...

	.end_amdgpu_metadata
